;; amdgpu-corpus repo=ROCm/rocFFT kind=compiled arch=gfx950 opt=O3
	.text
	.amdgcn_target "amdgcn-amd-amdhsa--gfx950"
	.amdhsa_code_object_version 6
	.protected	fft_rtc_back_len420_factors_10_7_6_wgs_60_tpt_60_dp_ip_CI_unitstride_sbrr_dirReg ; -- Begin function fft_rtc_back_len420_factors_10_7_6_wgs_60_tpt_60_dp_ip_CI_unitstride_sbrr_dirReg
	.globl	fft_rtc_back_len420_factors_10_7_6_wgs_60_tpt_60_dp_ip_CI_unitstride_sbrr_dirReg
	.p2align	8
	.type	fft_rtc_back_len420_factors_10_7_6_wgs_60_tpt_60_dp_ip_CI_unitstride_sbrr_dirReg,@function
fft_rtc_back_len420_factors_10_7_6_wgs_60_tpt_60_dp_ip_CI_unitstride_sbrr_dirReg: ; @fft_rtc_back_len420_factors_10_7_6_wgs_60_tpt_60_dp_ip_CI_unitstride_sbrr_dirReg
; %bb.0:
	s_load_dwordx2 s[8:9], s[0:1], 0x50
	s_load_dwordx4 s[4:7], s[0:1], 0x0
	s_load_dwordx2 s[10:11], s[0:1], 0x18
	v_mul_u32_u24_e32 v1, 0x445, v0
	v_add_u32_sdwa v6, s2, v1 dst_sel:DWORD dst_unused:UNUSED_PAD src0_sel:DWORD src1_sel:WORD_1
	v_mov_b32_e32 v4, 0
	s_waitcnt lgkmcnt(0)
	v_cmp_lt_u64_e64 s[2:3], s[6:7], 2
	v_mov_b32_e32 v7, v4
	s_and_b64 vcc, exec, s[2:3]
	v_mov_b64_e32 v[2:3], 0
	s_cbranch_vccnz .LBB0_8
; %bb.1:
	s_load_dwordx2 s[2:3], s[0:1], 0x10
	s_add_u32 s12, s10, 8
	s_addc_u32 s13, s11, 0
	s_mov_b64 s[14:15], 1
	v_mov_b64_e32 v[2:3], 0
	s_waitcnt lgkmcnt(0)
	s_add_u32 s16, s2, 8
	s_addc_u32 s17, s3, 0
.LBB0_2:                                ; =>This Inner Loop Header: Depth=1
	s_load_dwordx2 s[18:19], s[16:17], 0x0
                                        ; implicit-def: $vgpr8_vgpr9
	s_waitcnt lgkmcnt(0)
	v_or_b32_e32 v5, s19, v7
	v_cmp_ne_u64_e32 vcc, 0, v[4:5]
	s_and_saveexec_b64 s[2:3], vcc
	s_xor_b64 s[20:21], exec, s[2:3]
	s_cbranch_execz .LBB0_4
; %bb.3:                                ;   in Loop: Header=BB0_2 Depth=1
	v_cvt_f32_u32_e32 v1, s18
	v_cvt_f32_u32_e32 v5, s19
	s_sub_u32 s2, 0, s18
	s_subb_u32 s3, 0, s19
	v_fmac_f32_e32 v1, 0x4f800000, v5
	v_rcp_f32_e32 v1, v1
	s_nop 0
	v_mul_f32_e32 v1, 0x5f7ffffc, v1
	v_mul_f32_e32 v5, 0x2f800000, v1
	v_trunc_f32_e32 v5, v5
	v_fmac_f32_e32 v1, 0xcf800000, v5
	v_cvt_u32_f32_e32 v5, v5
	v_cvt_u32_f32_e32 v1, v1
	v_mul_lo_u32 v8, s2, v5
	v_mul_hi_u32 v10, s2, v1
	v_mul_lo_u32 v9, s3, v1
	v_add_u32_e32 v10, v10, v8
	v_mul_lo_u32 v12, s2, v1
	v_add_u32_e32 v13, v10, v9
	v_mul_hi_u32 v8, v1, v12
	v_mul_hi_u32 v11, v1, v13
	v_mul_lo_u32 v10, v1, v13
	v_mov_b32_e32 v9, v4
	v_lshl_add_u64 v[8:9], v[8:9], 0, v[10:11]
	v_mul_hi_u32 v11, v5, v12
	v_mul_lo_u32 v12, v5, v12
	v_add_co_u32_e32 v8, vcc, v8, v12
	v_mul_hi_u32 v10, v5, v13
	s_nop 0
	v_addc_co_u32_e32 v8, vcc, v9, v11, vcc
	v_mov_b32_e32 v9, v4
	s_nop 0
	v_addc_co_u32_e32 v11, vcc, 0, v10, vcc
	v_mul_lo_u32 v10, v5, v13
	v_lshl_add_u64 v[8:9], v[8:9], 0, v[10:11]
	v_add_co_u32_e32 v1, vcc, v1, v8
	v_mul_lo_u32 v10, s2, v1
	s_nop 0
	v_addc_co_u32_e32 v5, vcc, v5, v9, vcc
	v_mul_lo_u32 v8, s2, v5
	v_mul_hi_u32 v9, s2, v1
	v_add_u32_e32 v8, v9, v8
	v_mul_lo_u32 v9, s3, v1
	v_add_u32_e32 v12, v8, v9
	v_mul_hi_u32 v14, v5, v10
	v_mul_lo_u32 v15, v5, v10
	v_mul_hi_u32 v9, v1, v12
	v_mul_lo_u32 v8, v1, v12
	v_mul_hi_u32 v10, v1, v10
	v_mov_b32_e32 v11, v4
	v_lshl_add_u64 v[8:9], v[10:11], 0, v[8:9]
	v_add_co_u32_e32 v8, vcc, v8, v15
	v_mul_hi_u32 v13, v5, v12
	s_nop 0
	v_addc_co_u32_e32 v8, vcc, v9, v14, vcc
	v_mul_lo_u32 v10, v5, v12
	s_nop 0
	v_addc_co_u32_e32 v11, vcc, 0, v13, vcc
	v_mov_b32_e32 v9, v4
	v_lshl_add_u64 v[8:9], v[8:9], 0, v[10:11]
	v_add_co_u32_e32 v1, vcc, v1, v8
	v_mul_hi_u32 v10, v6, v1
	s_nop 0
	v_addc_co_u32_e32 v5, vcc, v5, v9, vcc
	v_mad_u64_u32 v[8:9], s[2:3], v6, v5, 0
	v_mov_b32_e32 v11, v4
	v_lshl_add_u64 v[8:9], v[10:11], 0, v[8:9]
	v_mad_u64_u32 v[12:13], s[2:3], v7, v1, 0
	v_add_co_u32_e32 v1, vcc, v8, v12
	v_mad_u64_u32 v[10:11], s[2:3], v7, v5, 0
	s_nop 0
	v_addc_co_u32_e32 v8, vcc, v9, v13, vcc
	v_mov_b32_e32 v9, v4
	s_nop 0
	v_addc_co_u32_e32 v11, vcc, 0, v11, vcc
	v_lshl_add_u64 v[8:9], v[8:9], 0, v[10:11]
	v_mul_lo_u32 v1, s19, v8
	v_mul_lo_u32 v5, s18, v9
	v_mad_u64_u32 v[10:11], s[2:3], s18, v8, 0
	v_add3_u32 v1, v11, v5, v1
	v_sub_u32_e32 v5, v7, v1
	v_mov_b32_e32 v11, s19
	v_sub_co_u32_e32 v14, vcc, v6, v10
	v_lshl_add_u64 v[12:13], v[8:9], 0, 1
	s_nop 0
	v_subb_co_u32_e64 v5, s[2:3], v5, v11, vcc
	v_subrev_co_u32_e64 v10, s[2:3], s18, v14
	v_subb_co_u32_e32 v1, vcc, v7, v1, vcc
	s_nop 0
	v_subbrev_co_u32_e64 v5, s[2:3], 0, v5, s[2:3]
	v_cmp_le_u32_e64 s[2:3], s19, v5
	v_cmp_le_u32_e32 vcc, s19, v1
	s_nop 0
	v_cndmask_b32_e64 v11, 0, -1, s[2:3]
	v_cmp_le_u32_e64 s[2:3], s18, v10
	s_nop 1
	v_cndmask_b32_e64 v10, 0, -1, s[2:3]
	v_cmp_eq_u32_e64 s[2:3], s19, v5
	s_nop 1
	v_cndmask_b32_e64 v5, v11, v10, s[2:3]
	v_lshl_add_u64 v[10:11], v[8:9], 0, 2
	v_cmp_ne_u32_e64 s[2:3], 0, v5
	s_nop 1
	v_cndmask_b32_e64 v5, v13, v11, s[2:3]
	v_cndmask_b32_e64 v11, 0, -1, vcc
	v_cmp_le_u32_e32 vcc, s18, v14
	s_nop 1
	v_cndmask_b32_e64 v13, 0, -1, vcc
	v_cmp_eq_u32_e32 vcc, s19, v1
	s_nop 1
	v_cndmask_b32_e32 v1, v11, v13, vcc
	v_cmp_ne_u32_e32 vcc, 0, v1
	v_cndmask_b32_e64 v1, v12, v10, s[2:3]
	s_nop 0
	v_cndmask_b32_e32 v9, v9, v5, vcc
	v_cndmask_b32_e32 v8, v8, v1, vcc
.LBB0_4:                                ;   in Loop: Header=BB0_2 Depth=1
	s_andn2_saveexec_b64 s[2:3], s[20:21]
	s_cbranch_execz .LBB0_6
; %bb.5:                                ;   in Loop: Header=BB0_2 Depth=1
	v_cvt_f32_u32_e32 v1, s18
	s_sub_i32 s20, 0, s18
	v_rcp_iflag_f32_e32 v1, v1
	s_nop 0
	v_mul_f32_e32 v1, 0x4f7ffffe, v1
	v_cvt_u32_f32_e32 v1, v1
	v_mul_lo_u32 v5, s20, v1
	v_mul_hi_u32 v5, v1, v5
	v_add_u32_e32 v1, v1, v5
	v_mul_hi_u32 v1, v6, v1
	v_mul_lo_u32 v5, v1, s18
	v_sub_u32_e32 v5, v6, v5
	v_add_u32_e32 v8, 1, v1
	v_subrev_u32_e32 v9, s18, v5
	v_cmp_le_u32_e32 vcc, s18, v5
	s_nop 1
	v_cndmask_b32_e32 v5, v5, v9, vcc
	v_cndmask_b32_e32 v1, v1, v8, vcc
	v_add_u32_e32 v8, 1, v1
	v_cmp_le_u32_e32 vcc, s18, v5
	v_mov_b32_e32 v9, v4
	s_nop 0
	v_cndmask_b32_e32 v8, v1, v8, vcc
.LBB0_6:                                ;   in Loop: Header=BB0_2 Depth=1
	s_or_b64 exec, exec, s[2:3]
	v_mad_u64_u32 v[10:11], s[2:3], v8, s18, 0
	s_load_dwordx2 s[2:3], s[12:13], 0x0
	v_mul_lo_u32 v1, v9, s18
	v_mul_lo_u32 v5, v8, s19
	v_add3_u32 v1, v11, v5, v1
	v_sub_co_u32_e32 v5, vcc, v6, v10
	s_add_u32 s14, s14, 1
	s_nop 0
	v_subb_co_u32_e32 v1, vcc, v7, v1, vcc
	s_addc_u32 s15, s15, 0
	s_waitcnt lgkmcnt(0)
	v_mul_lo_u32 v1, s2, v1
	v_mul_lo_u32 v6, s3, v5
	v_mad_u64_u32 v[2:3], s[2:3], s2, v5, v[2:3]
	s_add_u32 s12, s12, 8
	v_add3_u32 v3, v6, v3, v1
	s_addc_u32 s13, s13, 0
	v_mov_b64_e32 v[6:7], s[6:7]
	s_add_u32 s16, s16, 8
	v_cmp_ge_u64_e32 vcc, s[14:15], v[6:7]
	s_addc_u32 s17, s17, 0
	s_cbranch_vccnz .LBB0_9
; %bb.7:                                ;   in Loop: Header=BB0_2 Depth=1
	v_mov_b64_e32 v[6:7], v[8:9]
	s_branch .LBB0_2
.LBB0_8:
	v_mov_b64_e32 v[8:9], v[6:7]
.LBB0_9:
	s_lshl_b64 s[2:3], s[6:7], 3
	s_add_u32 s2, s10, s2
	s_addc_u32 s3, s11, s3
	s_load_dwordx2 s[6:7], s[2:3], 0x0
	s_load_dwordx2 s[10:11], s[0:1], 0x20
	s_mov_b32 s2, 0x4444445
	s_waitcnt lgkmcnt(0)
	v_mul_lo_u32 v1, s6, v9
	v_mul_lo_u32 v4, s7, v8
	v_mad_u64_u32 v[2:3], s[0:1], s6, v8, v[2:3]
	v_add3_u32 v3, v4, v3, v1
	v_mul_hi_u32 v1, v0, s2
	v_mul_u32_u24_e32 v1, 60, v1
	v_sub_u32_e32 v52, v0, v1
	v_cmp_gt_u64_e64 s[0:1], s[10:11], v[8:9]
	v_lshl_add_u64 v[54:55], v[2:3], 4, s[8:9]
	v_lshl_add_u32 v112, v52, 4, 0
	s_and_saveexec_b64 s[2:3], s[0:1]
	s_cbranch_execz .LBB0_11
; %bb.10:
	v_mov_b32_e32 v53, 0
	v_lshl_add_u64 v[28:29], v[52:53], 4, v[54:55]
	v_add_co_u32_e32 v30, vcc, 0x1000, v28
	global_load_dwordx4 v[0:3], v[28:29], off
	global_load_dwordx4 v[4:7], v[28:29], off offset:960
	global_load_dwordx4 v[8:11], v[28:29], off offset:1920
	;; [unrolled: 1-line block ×3, first 2 shown]
	v_addc_co_u32_e32 v31, vcc, 0, v29, vcc
	global_load_dwordx4 v[16:19], v[28:29], off offset:3840
	global_load_dwordx4 v[20:23], v[30:31], off offset:704
	;; [unrolled: 1-line block ×3, first 2 shown]
	s_waitcnt vmcnt(6)
	ds_write_b128 v112, v[0:3]
	s_waitcnt vmcnt(5)
	ds_write_b128 v112, v[4:7] offset:960
	s_waitcnt vmcnt(4)
	ds_write_b128 v112, v[8:11] offset:1920
	;; [unrolled: 2-line block ×6, first 2 shown]
.LBB0_11:
	s_or_b64 exec, exec, s[2:3]
	s_waitcnt lgkmcnt(0)
	; wave barrier
	s_waitcnt lgkmcnt(0)
	ds_read_b128 v[12:15], v112
	ds_read_b128 v[16:19], v112 offset:672
	ds_read_b128 v[20:23], v112 offset:1344
	ds_read_b128 v[24:27], v112 offset:2016
	ds_read_b128 v[32:35], v112 offset:5376
	ds_read_b128 v[40:43], v112 offset:2688
	ds_read_b128 v[28:31], v112 offset:3360
	ds_read_b128 v[44:47], v112 offset:4032
	ds_read_b128 v[36:39], v112 offset:4704
	ds_read_b128 v[48:51], v112 offset:6048
	s_waitcnt lgkmcnt(4)
	v_add_f64 v[0:1], v[20:21], -v[40:41]
	s_mov_b32 s6, 0x134454ff
	s_waitcnt lgkmcnt(2)
	v_add_f64 v[2:3], v[32:33], -v[44:45]
	v_add_f64 v[68:69], v[0:1], v[2:3]
	v_add_f64 v[0:1], v[20:21], v[32:33]
	s_mov_b32 s7, 0x3fee6f0e
	v_add_f64 v[64:65], v[42:43], -v[46:47]
	s_mov_b32 s2, 0x4755a5e
	v_fma_f64 v[58:59], -0.5, v[0:1], v[12:13]
	s_mov_b32 s13, 0xbfee6f0e
	s_mov_b32 s12, s6
	v_add_f64 v[60:61], v[22:23], -v[34:35]
	s_mov_b32 s3, 0x3fe2cf23
	s_mov_b32 s8, 0x372fe950
	v_fma_f64 v[56:57], s[6:7], v[64:65], v[58:59]
	s_mov_b32 s11, 0xbfe2cf23
	s_mov_b32 s10, s2
	v_add_f64 v[0:1], v[40:41], -v[20:21]
	v_add_f64 v[2:3], v[44:45], -v[32:33]
	v_fmac_f64_e32 v[58:59], s[12:13], v[64:65]
	s_mov_b32 s9, 0x3fd3c6ef
	v_fmac_f64_e32 v[56:57], s[10:11], v[60:61]
	v_add_f64 v[0:1], v[0:1], v[2:3]
	v_fmac_f64_e32 v[58:59], s[2:3], v[60:61]
	v_fmac_f64_e32 v[56:57], s[8:9], v[0:1]
	;; [unrolled: 1-line block ×3, first 2 shown]
	v_add_f64 v[0:1], v[22:23], -v[42:43]
	v_add_f64 v[2:3], v[34:35], -v[46:47]
	v_add_f64 v[70:71], v[0:1], v[2:3]
	v_add_f64 v[0:1], v[42:43], -v[22:23]
	v_add_f64 v[2:3], v[46:47], -v[34:35]
	v_add_f64 v[0:1], v[0:1], v[2:3]
	v_add_f64 v[2:3], v[22:23], v[34:35]
	v_fma_f64 v[66:67], -0.5, v[2:3], v[14:15]
	v_add_f64 v[74:75], v[40:41], -v[44:45]
	v_add_f64 v[72:73], v[20:21], -v[32:33]
	v_fma_f64 v[62:63], s[12:13], v[74:75], v[66:67]
	v_fmac_f64_e32 v[66:67], s[6:7], v[74:75]
	v_fmac_f64_e32 v[62:63], s[2:3], v[72:73]
	v_fmac_f64_e32 v[66:67], s[10:11], v[72:73]
	v_fmac_f64_e32 v[62:63], s[8:9], v[0:1]
	v_fmac_f64_e32 v[66:67], s[8:9], v[0:1]
	v_add_f64 v[0:1], v[24:25], -v[28:29]
	s_waitcnt lgkmcnt(0)
	v_add_f64 v[2:3], v[48:49], -v[36:37]
	v_add_f64 v[78:79], v[0:1], v[2:3]
	v_add_f64 v[0:1], v[28:29], -v[24:25]
	v_add_f64 v[2:3], v[36:37], -v[48:49]
	v_add_f64 v[0:1], v[0:1], v[2:3]
	v_add_f64 v[2:3], v[24:25], v[48:49]
	v_fma_f64 v[2:3], -0.5, v[2:3], v[16:17]
	v_add_f64 v[84:85], v[30:31], -v[38:39]
	v_add_f64 v[82:83], v[26:27], -v[50:51]
	v_fma_f64 v[4:5], s[6:7], v[84:85], v[2:3]
	v_fmac_f64_e32 v[2:3], s[12:13], v[84:85]
	v_fmac_f64_e32 v[4:5], s[10:11], v[82:83]
	v_fmac_f64_e32 v[2:3], s[2:3], v[82:83]
	v_fmac_f64_e32 v[4:5], s[8:9], v[0:1]
	v_fmac_f64_e32 v[2:3], s[8:9], v[0:1]
	v_add_f64 v[0:1], v[26:27], -v[30:31]
	v_add_f64 v[6:7], v[50:51], -v[38:39]
	v_add_f64 v[90:91], v[0:1], v[6:7]
	v_add_f64 v[0:1], v[30:31], -v[26:27]
	v_add_f64 v[6:7], v[38:39], -v[50:51]
	v_add_f64 v[0:1], v[0:1], v[6:7]
	v_add_f64 v[6:7], v[26:27], v[50:51]
	v_fma_f64 v[6:7], -0.5, v[6:7], v[18:19]
	v_add_f64 v[98:99], v[28:29], -v[36:37]
	v_add_f64 v[96:97], v[24:25], -v[48:49]
	v_fma_f64 v[8:9], s[12:13], v[98:99], v[6:7]
	v_fmac_f64_e32 v[6:7], s[6:7], v[98:99]
	v_fmac_f64_e32 v[6:7], s[10:11], v[96:97]
	;; [unrolled: 1-line block ×3, first 2 shown]
	s_mov_b32 s15, 0xbfd3c6ef
	s_mov_b32 s14, s8
	v_mul_f64 v[80:81], v[6:7], s[12:13]
	v_mul_f64 v[88:89], v[6:7], s[14:15]
	v_fmac_f64_e32 v[8:9], s[2:3], v[96:97]
	v_fmac_f64_e32 v[80:81], s[14:15], v[2:3]
	;; [unrolled: 1-line block ×3, first 2 shown]
	v_add_f64 v[2:3], v[30:31], v[38:39]
	v_fmac_f64_e32 v[8:9], s[8:9], v[0:1]
	v_add_f64 v[0:1], v[28:29], v[36:37]
	v_fma_f64 v[108:109], -0.5, v[2:3], v[18:19]
	v_fma_f64 v[106:107], -0.5, v[0:1], v[16:17]
	v_fma_f64 v[2:3], s[12:13], v[96:97], v[108:109]
	v_fma_f64 v[0:1], s[6:7], v[82:83], v[106:107]
	v_fmac_f64_e32 v[2:3], s[10:11], v[98:99]
	v_fmac_f64_e32 v[0:1], s[2:3], v[84:85]
	v_fmac_f64_e32 v[2:3], s[8:9], v[90:91]
	s_mov_b32 s15, 0xbfe9e377
	s_mov_b32 s14, 0x9b97f4a8
	v_fmac_f64_e32 v[0:1], s[8:9], v[78:79]
	v_mul_f64 v[92:93], v[2:3], s[10:11]
	v_mul_f64 v[100:101], v[2:3], s[14:15]
	v_fmac_f64_e32 v[92:93], s[14:15], v[0:1]
	v_fmac_f64_e32 v[100:101], s[2:3], v[0:1]
	v_add_f64 v[0:1], v[40:41], v[44:45]
	v_fma_f64 v[104:105], -0.5, v[0:1], v[12:13]
	v_add_f64 v[0:1], v[42:43], v[46:47]
	v_fma_f64 v[110:111], -0.5, v[0:1], v[14:15]
	v_fma_f64 v[94:95], s[6:7], v[60:61], v[104:105]
	v_fma_f64 v[102:103], s[12:13], v[72:73], v[110:111]
	v_mul_f64 v[76:77], v[8:9], s[12:13]
	v_mul_f64 v[86:87], v[8:9], s[8:9]
	v_fmac_f64_e32 v[94:95], s[2:3], v[64:65]
	v_fmac_f64_e32 v[102:103], s[10:11], v[74:75]
	;; [unrolled: 1-line block ×6, first 2 shown]
	v_add_f64 v[0:1], v[56:57], -v[76:77]
	v_add_f64 v[2:3], v[62:63], -v[86:87]
	;; [unrolled: 1-line block ×6, first 2 shown]
	v_cmp_gt_u32_e32 vcc, 42, v52
	s_waitcnt lgkmcnt(0)
	; wave barrier
	s_and_saveexec_b64 s[10:11], vcc
	s_cbranch_execz .LBB0_13
; %bb.12:
	v_mul_f64 v[72:73], v[72:73], s[6:7]
	v_mul_f64 v[74:75], v[74:75], s[2:3]
	v_add_f64 v[72:73], v[110:111], v[72:73]
	v_mul_f64 v[70:71], v[70:71], s[8:9]
	v_mul_f64 v[82:83], v[82:83], s[6:7]
	v_add_f64 v[72:73], v[74:75], v[72:73]
	v_add_f64 v[14:15], v[14:15], v[22:23]
	;; [unrolled: 1-line block ×3, first 2 shown]
	v_mul_f64 v[84:85], v[84:85], s[2:3]
	v_add_f64 v[72:73], v[70:71], v[72:73]
	v_add_f64 v[70:71], v[106:107], -v[82:83]
	v_add_f64 v[14:15], v[14:15], v[42:43]
	v_add_f64 v[12:13], v[12:13], v[40:41]
	v_mul_f64 v[78:79], v[78:79], s[8:9]
	v_mul_f64 v[96:97], v[96:97], s[6:7]
	v_add_f64 v[70:71], v[70:71], -v[84:85]
	v_add_f64 v[14:15], v[14:15], v[46:47]
	v_add_f64 v[12:13], v[12:13], v[44:45]
	v_mul_f64 v[60:61], v[60:61], s[6:7]
	v_mul_f64 v[98:99], v[98:99], s[2:3]
	v_add_f64 v[74:75], v[78:79], v[70:71]
	v_add_f64 v[70:71], v[108:109], v[96:97]
	;; [unrolled: 1-line block ×6, first 2 shown]
	v_mul_f64 v[64:65], v[64:65], s[2:3]
	v_mul_f64 v[90:91], v[90:91], s[8:9]
	v_add_f64 v[70:71], v[98:99], v[70:71]
	v_add_f64 v[14:15], v[14:15], v[30:31]
	v_add_f64 v[18:19], v[104:105], -v[60:61]
	v_add_f64 v[12:13], v[12:13], v[28:29]
	v_mul_f64 v[68:69], v[68:69], s[8:9]
	v_add_f64 v[82:83], v[90:91], v[70:71]
	v_add_f64 v[14:15], v[14:15], v[38:39]
	v_add_f64 v[18:19], v[18:19], -v[64:65]
	v_add_f64 v[12:13], v[12:13], v[36:37]
	v_mul_f64 v[78:79], v[74:75], s[2:3]
	s_mov_b32 s15, 0x3fe9e377
	v_add_f64 v[38:39], v[14:15], v[50:51]
	v_add_f64 v[42:43], v[68:69], v[18:19]
	v_mul_f64 v[18:19], v[82:83], s[2:3]
	v_add_f64 v[36:37], v[12:13], v[48:49]
	s_movk_i32 s2, 0x90
	v_fmac_f64_e32 v[78:79], s[14:15], v[82:83]
	v_add_f64 v[14:15], v[34:35], -v[38:39]
	v_fma_f64 v[46:47], v[74:75], s[14:15], -v[18:19]
	v_add_f64 v[12:13], v[32:33], -v[36:37]
	v_add_f64 v[34:35], v[34:35], v[38:39]
	v_add_f64 v[32:33], v[32:33], v[36:37]
	v_mad_u32_u24 v36, v52, s2, v112
	v_add_f64 v[70:71], v[72:73], -v[78:79]
	v_add_f64 v[68:69], v[42:43], -v[46:47]
	v_add_f64 v[18:19], v[102:103], v[100:101]
	v_add_f64 v[22:23], v[66:67], v[88:89]
	;; [unrolled: 1-line block ×8, first 2 shown]
	ds_write_b128 v36, v[32:35]
	ds_write_b128 v36, v[28:31] offset:16
	ds_write_b128 v36, v[24:27] offset:32
	;; [unrolled: 1-line block ×9, first 2 shown]
.LBB0_13:
	s_or_b64 exec, exec, s[10:11]
	s_movk_i32 s2, 0xcd
	v_mul_lo_u16_sdwa v12, v52, s2 dst_sel:DWORD dst_unused:UNUSED_PAD src0_sel:BYTE_0 src1_sel:DWORD
	v_lshrrev_b16_e32 v53, 11, v12
	v_mul_lo_u16_e32 v12, 10, v53
	v_sub_u16_e32 v80, v52, v12
	v_mov_b32_e32 v12, 6
	v_mul_u32_u24_sdwa v12, v80, v12 dst_sel:DWORD dst_unused:UNUSED_PAD src0_sel:BYTE_0 src1_sel:DWORD
	v_lshlrev_b32_e32 v36, 4, v12
	s_waitcnt lgkmcnt(0)
	; wave barrier
	s_waitcnt lgkmcnt(0)
	global_load_dwordx4 v[12:15], v36, s[4:5]
	global_load_dwordx4 v[16:19], v36, s[4:5] offset:16
	global_load_dwordx4 v[20:23], v36, s[4:5] offset:32
	;; [unrolled: 1-line block ×5, first 2 shown]
	ds_read_b128 v[36:39], v112
	ds_read_b128 v[40:43], v112 offset:960
	ds_read_b128 v[44:47], v112 offset:1920
	;; [unrolled: 1-line block ×6, first 2 shown]
	s_mov_b32 s8, 0xe976ee23
	s_mov_b32 s9, 0x3fe11646
	;; [unrolled: 1-line block ×6, first 2 shown]
	s_waitcnt lgkmcnt(0)
	; wave barrier
	s_waitcnt lgkmcnt(0)
	v_cmp_gt_u32_e32 vcc, 10, v52
	s_waitcnt vmcnt(5)
	v_mul_f64 v[68:69], v[42:43], v[14:15]
	v_mul_f64 v[14:15], v[40:41], v[14:15]
	s_waitcnt vmcnt(4)
	v_mul_f64 v[70:71], v[46:47], v[18:19]
	v_mul_f64 v[18:19], v[44:45], v[18:19]
	;; [unrolled: 3-line block ×3, first 2 shown]
	s_waitcnt vmcnt(1)
	v_mul_f64 v[76:77], v[62:63], v[30:31]
	s_waitcnt vmcnt(0)
	v_mul_f64 v[78:79], v[66:67], v[34:35]
	v_mul_f64 v[34:35], v[64:65], v[34:35]
	;; [unrolled: 1-line block ×5, first 2 shown]
	v_fmac_f64_e32 v[68:69], v[40:41], v[12:13]
	v_fma_f64 v[12:13], v[42:43], v[12:13], -v[14:15]
	v_fmac_f64_e32 v[70:71], v[44:45], v[16:17]
	v_fma_f64 v[14:15], v[46:47], v[16:17], -v[18:19]
	v_fma_f64 v[16:17], v[50:51], v[20:21], -v[22:23]
	v_fmac_f64_e32 v[76:77], v[60:61], v[28:29]
	v_fmac_f64_e32 v[78:79], v[64:65], v[32:33]
	v_fma_f64 v[22:23], v[66:67], v[32:33], -v[34:35]
	v_fmac_f64_e32 v[72:73], v[48:49], v[20:21]
	v_fmac_f64_e32 v[74:75], v[56:57], v[24:25]
	v_fma_f64 v[18:19], v[58:59], v[24:25], -v[26:27]
	v_fma_f64 v[20:21], v[62:63], v[28:29], -v[30:31]
	v_add_f64 v[24:25], v[68:69], v[78:79]
	v_add_f64 v[26:27], v[12:13], v[22:23]
	v_add_f64 v[12:13], v[12:13], -v[22:23]
	v_add_f64 v[22:23], v[70:71], v[76:77]
	v_add_f64 v[30:31], v[14:15], v[20:21]
	v_add_f64 v[32:33], v[70:71], -v[76:77]
	v_add_f64 v[14:15], v[14:15], -v[20:21]
	v_add_f64 v[20:21], v[72:73], v[74:75]
	v_add_f64 v[34:35], v[16:17], v[18:19]
	v_add_f64 v[40:41], v[74:75], -v[72:73]
	;; [unrolled: 4-line block ×3, first 2 shown]
	v_add_f64 v[24:25], v[24:25], -v[20:21]
	v_add_f64 v[22:23], v[20:21], -v[22:23]
	v_add_f64 v[50:51], v[16:17], v[14:15]
	v_add_f64 v[56:57], v[40:41], -v[32:33]
	v_add_f64 v[58:59], v[16:17], -v[14:15]
	v_add_f64 v[20:21], v[20:21], v[18:19]
	v_add_f64 v[46:47], v[30:31], -v[26:27]
	v_add_f64 v[26:27], v[26:27], -v[34:35]
	;; [unrolled: 1-line block ×5, first 2 shown]
	v_add_f64 v[34:35], v[34:35], v[42:43]
	v_add_f64 v[12:13], v[50:51], v[12:13]
	v_mul_f64 v[50:51], v[56:57], s[8:9]
	v_mul_f64 v[56:57], v[58:59], s[8:9]
	v_add_f64 v[16:17], v[36:37], v[20:21]
	s_mov_b32 s8, 0xaaaaaaaa
	v_add_f64 v[18:19], v[38:39], v[34:35]
	s_mov_b32 s9, 0xbff2aaaa
	v_mov_b64_e32 v[58:59], v[16:17]
	v_add_f64 v[28:29], v[68:69], -v[78:79]
	v_add_f64 v[48:49], v[40:41], v[32:33]
	v_fmac_f64_e32 v[58:59], s[8:9], v[20:21]
	v_mov_b64_e32 v[20:21], v[18:19]
	v_add_f64 v[40:41], v[28:29], -v[40:41]
	v_add_f64 v[32:33], v[32:33], -v[28:29]
	v_add_f64 v[28:29], v[48:49], v[28:29]
	v_mul_f64 v[42:43], v[22:23], s[2:3]
	v_mul_f64 v[48:49], v[30:31], s[2:3]
	v_fmac_f64_e32 v[20:21], s[8:9], v[34:35]
	s_mov_b32 s9, 0x3fe77f67
	s_mov_b32 s8, 0x5476071b
	v_mul_f64 v[24:25], v[24:25], s[6:7]
	v_mul_f64 v[26:27], v[26:27], s[6:7]
	s_mov_b32 s6, 0x429ad128
	v_fma_f64 v[34:35], v[44:45], s[8:9], -v[42:43]
	v_fma_f64 v[42:43], v[46:47], s[8:9], -v[48:49]
	s_mov_b32 s9, 0xbfe77f67
	s_mov_b32 s7, 0xbfebfeb5
	v_fma_f64 v[22:23], s[2:3], v[22:23], v[24:25]
	v_fma_f64 v[24:25], v[44:45], s[8:9], -v[24:25]
	v_fma_f64 v[44:45], v[46:47], s[8:9], -v[26:27]
	v_fmac_f64_e32 v[26:27], s[2:3], v[30:31]
	s_mov_b32 s3, 0xbfd5d0dc
	s_mov_b32 s2, 0xb247c609
	v_mul_f64 v[36:37], v[32:33], s[6:7]
	v_mul_f64 v[38:39], v[14:15], s[6:7]
	v_fma_f64 v[46:47], s[2:3], v[40:41], v[50:51]
	v_fma_f64 v[14:15], v[14:15], s[6:7], -v[56:57]
	v_fmac_f64_e32 v[56:57], s[2:3], v[60:61]
	s_mov_b32 s3, 0x3fd5d0dc
	v_fma_f64 v[40:41], v[40:41], s[2:3], -v[36:37]
	v_fma_f64 v[36:37], v[60:61], s[2:3], -v[38:39]
	s_mov_b32 s2, 0x37c3f68c
	s_mov_b32 s3, 0xbfdc38aa
	v_fma_f64 v[48:49], v[32:33], s[6:7], -v[50:51]
	v_add_f64 v[32:33], v[34:35], v[58:59]
	v_add_f64 v[34:35], v[42:43], v[20:21]
	;; [unrolled: 1-line block ×4, first 2 shown]
	v_fmac_f64_e32 v[40:41], s[2:3], v[28:29]
	v_fmac_f64_e32 v[36:37], s[2:3], v[12:13]
	v_add_f64 v[60:61], v[26:27], v[20:21]
	v_add_f64 v[24:25], v[36:37], v[38:39]
	v_add_f64 v[26:27], v[42:43], -v[40:41]
	v_add_f64 v[36:37], v[38:39], -v[36:37]
	v_add_f64 v[38:39], v[40:41], v[42:43]
	v_mov_b32_e32 v41, 4
	v_fmac_f64_e32 v[48:49], s[2:3], v[28:29]
	v_fmac_f64_e32 v[14:15], s[2:3], v[12:13]
	v_mul_u32_u24_e32 v40, 0x460, v53
	v_lshlrev_b32_sdwa v41, v41, v80 dst_sel:DWORD dst_unused:UNUSED_PAD src0_sel:DWORD src1_sel:BYTE_0
	v_add_f64 v[50:51], v[22:23], v[58:59]
	v_fmac_f64_e32 v[46:47], s[2:3], v[28:29]
	v_fmac_f64_e32 v[56:57], s[2:3], v[12:13]
	v_add_f64 v[28:29], v[32:33], -v[14:15]
	v_add_f64 v[30:31], v[48:49], v[34:35]
	v_add_f64 v[32:33], v[14:15], v[32:33]
	v_add_f64 v[34:35], v[34:35], -v[48:49]
	v_add3_u32 v40, 0, v40, v41
	v_add_f64 v[20:21], v[56:57], v[50:51]
	v_add_f64 v[22:23], v[60:61], -v[46:47]
	v_add_f64 v[12:13], v[50:51], -v[56:57]
	v_add_f64 v[14:15], v[46:47], v[60:61]
	ds_write_b128 v40, v[16:19]
	ds_write_b128 v40, v[20:23] offset:160
	ds_write_b128 v40, v[24:27] offset:320
	;; [unrolled: 1-line block ×6, first 2 shown]
	s_waitcnt lgkmcnt(0)
	; wave barrier
	s_waitcnt lgkmcnt(0)
	ds_read_b128 v[24:27], v112
	ds_read_b128 v[44:47], v112 offset:1120
	ds_read_b128 v[40:43], v112 offset:2240
	;; [unrolled: 1-line block ×5, first 2 shown]
                                        ; implicit-def: $vgpr22_vgpr23
                                        ; implicit-def: $vgpr18_vgpr19
	s_and_saveexec_b64 s[2:3], vcc
	s_cbranch_execz .LBB0_15
; %bb.14:
	ds_read_b128 v[12:15], v112 offset:960
	ds_read_b128 v[0:3], v112 offset:2080
	;; [unrolled: 1-line block ×6, first 2 shown]
.LBB0_15:
	s_or_b64 exec, exec, s[2:3]
	v_mul_u32_u24_e32 v48, 5, v52
	v_lshlrev_b32_e32 v53, 4, v48
	global_load_dwordx4 v[48:51], v53, s[4:5] offset:960
	global_load_dwordx4 v[56:59], v53, s[4:5] offset:976
	;; [unrolled: 1-line block ×5, first 2 shown]
	s_mov_b32 s6, 0xe8584caa
	s_mov_b32 s7, 0xbfebb67a
	;; [unrolled: 1-line block ×4, first 2 shown]
	s_waitcnt lgkmcnt(0)
	; wave barrier
	s_waitcnt vmcnt(4) lgkmcnt(0)
	v_mul_f64 v[72:73], v[46:47], v[50:51]
	v_mul_f64 v[50:51], v[44:45], v[50:51]
	s_waitcnt vmcnt(3)
	v_mul_f64 v[74:75], v[42:43], v[58:59]
	v_mul_f64 v[58:59], v[40:41], v[58:59]
	s_waitcnt vmcnt(2)
	;; [unrolled: 3-line block ×4, first 2 shown]
	v_mul_f64 v[80:81], v[30:31], v[70:71]
	v_mul_f64 v[70:71], v[28:29], v[70:71]
	v_fmac_f64_e32 v[72:73], v[44:45], v[48:49]
	v_fma_f64 v[44:45], v[46:47], v[48:49], -v[50:51]
	v_fmac_f64_e32 v[74:75], v[40:41], v[56:57]
	v_fma_f64 v[40:41], v[42:43], v[56:57], -v[58:59]
	;; [unrolled: 2-line block ×5, first 2 shown]
	v_add_f64 v[34:35], v[74:75], v[78:79]
	v_add_f64 v[38:39], v[40:41], -v[32:33]
	v_add_f64 v[42:43], v[26:27], v[40:41]
	v_add_f64 v[40:41], v[40:41], v[32:33]
	v_add_f64 v[56:57], v[36:37], -v[28:29]
	v_add_f64 v[58:59], v[44:45], v[36:37]
	v_add_f64 v[36:37], v[36:37], v[28:29]
	;; [unrolled: 1-line block ×3, first 2 shown]
	v_add_f64 v[46:47], v[74:75], -v[78:79]
	v_add_f64 v[50:51], v[76:77], v[80:81]
	v_add_f64 v[60:61], v[76:77], -v[80:81]
	v_fmac_f64_e32 v[24:25], -0.5, v[34:35]
	v_fmac_f64_e32 v[26:27], -0.5, v[40:41]
	;; [unrolled: 1-line block ×3, first 2 shown]
	v_add_f64 v[48:49], v[72:73], v[76:77]
	v_add_f64 v[34:35], v[42:43], v[32:33]
	v_fmac_f64_e32 v[72:73], -0.5, v[50:51]
	v_add_f64 v[40:41], v[58:59], v[28:29]
	v_fma_f64 v[36:37], s[6:7], v[38:39], v[24:25]
	v_fmac_f64_e32 v[24:25], s[2:3], v[38:39]
	v_fma_f64 v[38:39], s[2:3], v[46:47], v[26:27]
	v_fmac_f64_e32 v[26:27], s[6:7], v[46:47]
	v_fma_f64 v[46:47], s[2:3], v[60:61], v[44:45]
	v_add_f64 v[62:63], v[30:31], v[78:79]
	v_add_f64 v[32:33], v[48:49], v[80:81]
	v_fma_f64 v[42:43], s[6:7], v[56:57], v[72:73]
	v_fmac_f64_e32 v[44:45], s[6:7], v[60:61]
	v_add_f64 v[30:31], v[34:35], v[40:41]
	v_add_f64 v[34:35], v[34:35], -v[40:41]
	v_mul_f64 v[40:41], v[46:47], s[6:7]
	v_mul_f64 v[46:47], v[46:47], 0.5
	v_fmac_f64_e32 v[72:73], s[2:3], v[56:57]
	v_add_f64 v[28:29], v[62:63], v[32:33]
	v_mul_f64 v[48:49], v[44:45], s[6:7]
	v_mul_f64 v[44:45], v[44:45], -0.5
	v_fmac_f64_e32 v[40:41], 0.5, v[42:43]
	v_fmac_f64_e32 v[46:47], s[2:3], v[42:43]
	v_add_f64 v[32:33], v[62:63], -v[32:33]
	ds_write_b128 v112, v[28:31]
	ds_write_b128 v112, v[32:35] offset:3360
	v_fmac_f64_e32 v[48:49], -0.5, v[72:73]
	v_fmac_f64_e32 v[44:45], s[2:3], v[72:73]
	v_add_f64 v[28:29], v[36:37], v[40:41]
	v_add_f64 v[30:31], v[38:39], v[46:47]
	;; [unrolled: 1-line block ×4, first 2 shown]
	v_add_f64 v[36:37], v[36:37], -v[40:41]
	v_add_f64 v[24:25], v[24:25], -v[48:49]
	;; [unrolled: 1-line block ×4, first 2 shown]
	ds_write_b128 v112, v[28:31] offset:1120
	ds_write_b128 v112, v[32:35] offset:2240
	;; [unrolled: 1-line block ×4, first 2 shown]
	s_and_saveexec_b64 s[8:9], vcc
	s_cbranch_execz .LBB0_17
; %bb.16:
	v_add_u32_e32 v24, 60, v52
	v_add_u32_e32 v25, -10, v52
	v_cndmask_b32_e32 v24, v25, v24, vcc
	v_mul_i32_i24_e32 v24, 5, v24
	v_mov_b32_e32 v25, 0
	v_lshl_add_u64 v[44:45], v[24:25], 4, s[4:5]
	global_load_dwordx4 v[24:27], v[44:45], off offset:976
	global_load_dwordx4 v[28:31], v[44:45], off offset:1008
	;; [unrolled: 1-line block ×5, first 2 shown]
	s_waitcnt vmcnt(4)
	v_mul_f64 v[44:45], v[4:5], v[26:27]
	v_mul_f64 v[26:27], v[6:7], v[26:27]
	s_waitcnt vmcnt(2)
	v_mul_f64 v[48:49], v[8:9], v[34:35]
	s_waitcnt vmcnt(1)
	v_mul_f64 v[50:51], v[20:21], v[38:39]
	v_mul_f64 v[46:47], v[16:17], v[30:31]
	;; [unrolled: 1-line block ×3, first 2 shown]
	s_waitcnt vmcnt(0)
	v_mul_f64 v[56:57], v[2:3], v[42:43]
	v_mul_f64 v[34:35], v[10:11], v[34:35]
	;; [unrolled: 1-line block ×4, first 2 shown]
	v_fmac_f64_e32 v[26:27], v[4:5], v[24:25]
	v_fma_f64 v[4:5], v[10:11], v[32:33], -v[48:49]
	v_fma_f64 v[10:11], v[22:23], v[36:37], -v[50:51]
	v_fmac_f64_e32 v[30:31], v[16:17], v[28:29]
	v_fmac_f64_e32 v[56:57], v[0:1], v[40:41]
	;; [unrolled: 1-line block ×4, first 2 shown]
	v_fma_f64 v[0:1], v[2:3], v[40:41], -v[42:43]
	v_add_f64 v[22:23], v[4:5], v[10:11]
	v_fma_f64 v[6:7], v[6:7], v[24:25], -v[44:45]
	v_fma_f64 v[18:19], v[18:19], v[28:29], -v[46:47]
	v_add_f64 v[20:21], v[34:35], v[38:39]
	v_add_f64 v[24:25], v[34:35], -v[38:39]
	v_add_f64 v[32:33], v[26:27], v[30:31]
	v_fma_f64 v[22:23], -0.5, v[22:23], v[0:1]
	v_add_f64 v[2:3], v[6:7], v[18:19]
	v_add_f64 v[8:9], v[26:27], -v[30:31]
	v_add_f64 v[16:17], v[4:5], -v[10:11]
	v_add_f64 v[28:29], v[14:15], v[6:7]
	v_add_f64 v[4:5], v[0:1], v[4:5]
	;; [unrolled: 1-line block ×4, first 2 shown]
	v_fma_f64 v[20:21], -0.5, v[20:21], v[56:57]
	v_fma_f64 v[12:13], -0.5, v[32:33], v[12:13]
	v_fma_f64 v[32:33], s[6:7], v[24:25], v[22:23]
	v_fmac_f64_e32 v[22:23], s[2:3], v[24:25]
	v_add_f64 v[6:7], v[6:7], -v[18:19]
	v_fma_f64 v[14:15], -0.5, v[2:3], v[14:15]
	v_add_f64 v[18:19], v[28:29], v[18:19]
	v_add_f64 v[4:5], v[4:5], v[10:11]
	;; [unrolled: 1-line block ×4, first 2 shown]
	v_fma_f64 v[30:31], s[2:3], v[16:17], v[20:21]
	v_fmac_f64_e32 v[20:21], s[6:7], v[16:17]
	v_mul_f64 v[16:17], v[22:23], 0.5
	v_mul_f64 v[22:23], v[22:23], s[6:7]
	v_fma_f64 v[28:29], s[6:7], v[8:9], v[14:15]
	v_fmac_f64_e32 v[14:15], s[2:3], v[8:9]
	v_add_f64 v[2:3], v[18:19], -v[4:5]
	v_fma_f64 v[8:9], s[2:3], v[6:7], v[12:13]
	v_fmac_f64_e32 v[12:13], s[6:7], v[6:7]
	v_add_f64 v[0:1], v[10:11], -v[26:27]
	v_add_f64 v[6:7], v[18:19], v[4:5]
	v_add_f64 v[4:5], v[10:11], v[26:27]
	v_mul_f64 v[10:11], v[32:33], -0.5
	v_mul_f64 v[18:19], v[32:33], s[6:7]
	v_fmac_f64_e32 v[16:17], s[2:3], v[20:21]
	v_fmac_f64_e32 v[22:23], 0.5, v[20:21]
	ds_write_b128 v112, v[4:7] offset:960
	ds_write_b128 v112, v[0:3] offset:4320
	v_fmac_f64_e32 v[10:11], s[2:3], v[30:31]
	v_fmac_f64_e32 v[18:19], -0.5, v[30:31]
	v_add_f64 v[6:7], v[14:15], -v[16:17]
	v_add_f64 v[4:5], v[12:13], -v[22:23]
	v_add_f64 v[14:15], v[14:15], v[16:17]
	v_add_f64 v[12:13], v[12:13], v[22:23]
	v_add_f64 v[2:3], v[28:29], -v[10:11]
	v_add_f64 v[0:1], v[8:9], -v[18:19]
	v_add_f64 v[10:11], v[28:29], v[10:11]
	v_add_f64 v[8:9], v[8:9], v[18:19]
	ds_write_b128 v112, v[12:15] offset:2080
	ds_write_b128 v112, v[8:11] offset:3200
	;; [unrolled: 1-line block ×4, first 2 shown]
.LBB0_17:
	s_or_b64 exec, exec, s[8:9]
	s_waitcnt lgkmcnt(0)
	; wave barrier
	s_waitcnt lgkmcnt(0)
	s_and_saveexec_b64 s[2:3], s[0:1]
	s_cbranch_execz .LBB0_19
; %bb.18:
	ds_read_b128 v[0:3], v112
	v_mov_b32_e32 v53, 0
	ds_read_b128 v[4:7], v112 offset:960
	ds_read_b128 v[8:11], v112 offset:1920
	;; [unrolled: 1-line block ×3, first 2 shown]
	v_lshl_add_u64 v[16:17], v[52:53], 4, v[54:55]
	s_waitcnt lgkmcnt(3)
	global_store_dwordx4 v[16:17], v[0:3], off
	ds_read_b128 v[0:3], v112 offset:3840
	s_waitcnt lgkmcnt(3)
	global_store_dwordx4 v[16:17], v[4:7], off offset:960
	s_waitcnt lgkmcnt(2)
	global_store_dwordx4 v[16:17], v[8:11], off offset:1920
	s_waitcnt lgkmcnt(1)
	global_store_dwordx4 v[16:17], v[12:15], off offset:2880
	ds_read_b128 v[4:7], v112 offset:4800
	v_add_co_u32_e32 v8, vcc, 0x1000, v16
	s_waitcnt lgkmcnt(1)
	global_store_dwordx4 v[16:17], v[0:3], off offset:3840
	ds_read_b128 v[0:3], v112 offset:5760
	v_addc_co_u32_e32 v9, vcc, 0, v17, vcc
	s_waitcnt lgkmcnt(1)
	global_store_dwordx4 v[8:9], v[4:7], off offset:704
	s_waitcnt lgkmcnt(0)
	global_store_dwordx4 v[8:9], v[0:3], off offset:1664
.LBB0_19:
	s_endpgm
	.section	.rodata,"a",@progbits
	.p2align	6, 0x0
	.amdhsa_kernel fft_rtc_back_len420_factors_10_7_6_wgs_60_tpt_60_dp_ip_CI_unitstride_sbrr_dirReg
		.amdhsa_group_segment_fixed_size 0
		.amdhsa_private_segment_fixed_size 0
		.amdhsa_kernarg_size 88
		.amdhsa_user_sgpr_count 2
		.amdhsa_user_sgpr_dispatch_ptr 0
		.amdhsa_user_sgpr_queue_ptr 0
		.amdhsa_user_sgpr_kernarg_segment_ptr 1
		.amdhsa_user_sgpr_dispatch_id 0
		.amdhsa_user_sgpr_kernarg_preload_length 0
		.amdhsa_user_sgpr_kernarg_preload_offset 0
		.amdhsa_user_sgpr_private_segment_size 0
		.amdhsa_uses_dynamic_stack 0
		.amdhsa_enable_private_segment 0
		.amdhsa_system_sgpr_workgroup_id_x 1
		.amdhsa_system_sgpr_workgroup_id_y 0
		.amdhsa_system_sgpr_workgroup_id_z 0
		.amdhsa_system_sgpr_workgroup_info 0
		.amdhsa_system_vgpr_workitem_id 0
		.amdhsa_next_free_vgpr 113
		.amdhsa_next_free_sgpr 22
		.amdhsa_accum_offset 116
		.amdhsa_reserve_vcc 1
		.amdhsa_float_round_mode_32 0
		.amdhsa_float_round_mode_16_64 0
		.amdhsa_float_denorm_mode_32 3
		.amdhsa_float_denorm_mode_16_64 3
		.amdhsa_dx10_clamp 1
		.amdhsa_ieee_mode 1
		.amdhsa_fp16_overflow 0
		.amdhsa_tg_split 0
		.amdhsa_exception_fp_ieee_invalid_op 0
		.amdhsa_exception_fp_denorm_src 0
		.amdhsa_exception_fp_ieee_div_zero 0
		.amdhsa_exception_fp_ieee_overflow 0
		.amdhsa_exception_fp_ieee_underflow 0
		.amdhsa_exception_fp_ieee_inexact 0
		.amdhsa_exception_int_div_zero 0
	.end_amdhsa_kernel
	.text
.Lfunc_end0:
	.size	fft_rtc_back_len420_factors_10_7_6_wgs_60_tpt_60_dp_ip_CI_unitstride_sbrr_dirReg, .Lfunc_end0-fft_rtc_back_len420_factors_10_7_6_wgs_60_tpt_60_dp_ip_CI_unitstride_sbrr_dirReg
                                        ; -- End function
	.section	.AMDGPU.csdata,"",@progbits
; Kernel info:
; codeLenInByte = 5584
; NumSgprs: 28
; NumVgprs: 113
; NumAgprs: 0
; TotalNumVgprs: 113
; ScratchSize: 0
; MemoryBound: 0
; FloatMode: 240
; IeeeMode: 1
; LDSByteSize: 0 bytes/workgroup (compile time only)
; SGPRBlocks: 3
; VGPRBlocks: 14
; NumSGPRsForWavesPerEU: 28
; NumVGPRsForWavesPerEU: 113
; AccumOffset: 116
; Occupancy: 4
; WaveLimiterHint : 1
; COMPUTE_PGM_RSRC2:SCRATCH_EN: 0
; COMPUTE_PGM_RSRC2:USER_SGPR: 2
; COMPUTE_PGM_RSRC2:TRAP_HANDLER: 0
; COMPUTE_PGM_RSRC2:TGID_X_EN: 1
; COMPUTE_PGM_RSRC2:TGID_Y_EN: 0
; COMPUTE_PGM_RSRC2:TGID_Z_EN: 0
; COMPUTE_PGM_RSRC2:TIDIG_COMP_CNT: 0
; COMPUTE_PGM_RSRC3_GFX90A:ACCUM_OFFSET: 28
; COMPUTE_PGM_RSRC3_GFX90A:TG_SPLIT: 0
	.text
	.p2alignl 6, 3212836864
	.fill 256, 4, 3212836864
	.type	__hip_cuid_ab9a19507da576df,@object ; @__hip_cuid_ab9a19507da576df
	.section	.bss,"aw",@nobits
	.globl	__hip_cuid_ab9a19507da576df
__hip_cuid_ab9a19507da576df:
	.byte	0                               ; 0x0
	.size	__hip_cuid_ab9a19507da576df, 1

	.ident	"AMD clang version 19.0.0git (https://github.com/RadeonOpenCompute/llvm-project roc-6.4.0 25133 c7fe45cf4b819c5991fe208aaa96edf142730f1d)"
	.section	".note.GNU-stack","",@progbits
	.addrsig
	.addrsig_sym __hip_cuid_ab9a19507da576df
	.amdgpu_metadata
---
amdhsa.kernels:
  - .agpr_count:     0
    .args:
      - .actual_access:  read_only
        .address_space:  global
        .offset:         0
        .size:           8
        .value_kind:     global_buffer
      - .offset:         8
        .size:           8
        .value_kind:     by_value
      - .actual_access:  read_only
        .address_space:  global
        .offset:         16
        .size:           8
        .value_kind:     global_buffer
      - .actual_access:  read_only
        .address_space:  global
        .offset:         24
        .size:           8
        .value_kind:     global_buffer
      - .offset:         32
        .size:           8
        .value_kind:     by_value
      - .actual_access:  read_only
        .address_space:  global
        .offset:         40
        .size:           8
        .value_kind:     global_buffer
      - .actual_access:  read_only
        .address_space:  global
        .offset:         48
        .size:           8
        .value_kind:     global_buffer
      - .offset:         56
        .size:           4
        .value_kind:     by_value
      - .actual_access:  read_only
        .address_space:  global
        .offset:         64
        .size:           8
        .value_kind:     global_buffer
      - .actual_access:  read_only
        .address_space:  global
        .offset:         72
        .size:           8
        .value_kind:     global_buffer
      - .address_space:  global
        .offset:         80
        .size:           8
        .value_kind:     global_buffer
    .group_segment_fixed_size: 0
    .kernarg_segment_align: 8
    .kernarg_segment_size: 88
    .language:       OpenCL C
    .language_version:
      - 2
      - 0
    .max_flat_workgroup_size: 60
    .name:           fft_rtc_back_len420_factors_10_7_6_wgs_60_tpt_60_dp_ip_CI_unitstride_sbrr_dirReg
    .private_segment_fixed_size: 0
    .sgpr_count:     28
    .sgpr_spill_count: 0
    .symbol:         fft_rtc_back_len420_factors_10_7_6_wgs_60_tpt_60_dp_ip_CI_unitstride_sbrr_dirReg.kd
    .uniform_work_group_size: 1
    .uses_dynamic_stack: false
    .vgpr_count:     113
    .vgpr_spill_count: 0
    .wavefront_size: 64
amdhsa.target:   amdgcn-amd-amdhsa--gfx950
amdhsa.version:
  - 1
  - 2
...

	.end_amdgpu_metadata
